;; amdgpu-corpus repo=ROCm/rocFFT kind=compiled arch=gfx906 opt=O3
	.text
	.amdgcn_target "amdgcn-amd-amdhsa--gfx906"
	.amdhsa_code_object_version 6
	.protected	fft_rtc_fwd_len340_factors_17_2_10_wgs_102_tpt_34_halfLds_sp_op_CI_CI_sbrr_dirReg ; -- Begin function fft_rtc_fwd_len340_factors_17_2_10_wgs_102_tpt_34_halfLds_sp_op_CI_CI_sbrr_dirReg
	.globl	fft_rtc_fwd_len340_factors_17_2_10_wgs_102_tpt_34_halfLds_sp_op_CI_CI_sbrr_dirReg
	.p2align	8
	.type	fft_rtc_fwd_len340_factors_17_2_10_wgs_102_tpt_34_halfLds_sp_op_CI_CI_sbrr_dirReg,@function
fft_rtc_fwd_len340_factors_17_2_10_wgs_102_tpt_34_halfLds_sp_op_CI_CI_sbrr_dirReg: ; @fft_rtc_fwd_len340_factors_17_2_10_wgs_102_tpt_34_halfLds_sp_op_CI_CI_sbrr_dirReg
; %bb.0:
	s_load_dwordx4 s[16:19], s[4:5], 0x18
	s_load_dwordx4 s[12:15], s[4:5], 0x0
	;; [unrolled: 1-line block ×3, first 2 shown]
	v_mul_u32_u24_e32 v1, 0x788, v0
	v_lshrrev_b32_e32 v1, 16, v1
	v_mad_u64_u32 v[39:40], s[0:1], s6, 3, v[1:2]
	s_waitcnt lgkmcnt(0)
	s_load_dwordx2 s[20:21], s[16:17], 0x0
	s_load_dwordx2 s[2:3], s[18:19], 0x0
	v_mov_b32_e32 v5, 0
	v_cmp_lt_u64_e64 s[0:1], s[14:15], 2
	v_mov_b32_e32 v41, 0
	v_mov_b32_e32 v40, v5
	;; [unrolled: 1-line block ×5, first 2 shown]
	s_and_b64 vcc, exec, s[0:1]
	v_mov_b32_e32 v2, v42
	v_mov_b32_e32 v4, v40
	s_cbranch_vccnz .LBB0_8
; %bb.1:
	s_load_dwordx2 s[0:1], s[4:5], 0x10
	s_add_u32 s6, s18, 8
	s_addc_u32 s7, s19, 0
	s_add_u32 s22, s16, 8
	s_addc_u32 s23, s17, 0
	v_mov_b32_e32 v41, 0
	s_waitcnt lgkmcnt(0)
	s_add_u32 s24, s0, 8
	v_mov_b32_e32 v42, 0
	v_mov_b32_e32 v1, v41
	;; [unrolled: 1-line block ×3, first 2 shown]
	s_addc_u32 s25, s1, 0
	s_mov_b64 s[26:27], 1
	v_mov_b32_e32 v2, v42
	v_mov_b32_e32 v8, v40
.LBB0_2:                                ; =>This Inner Loop Header: Depth=1
	s_load_dwordx2 s[28:29], s[24:25], 0x0
                                        ; implicit-def: $vgpr3_vgpr4
	s_waitcnt lgkmcnt(0)
	v_or_b32_e32 v6, s29, v8
	v_cmp_ne_u64_e32 vcc, 0, v[5:6]
	s_and_saveexec_b64 s[0:1], vcc
	s_xor_b64 s[30:31], exec, s[0:1]
	s_cbranch_execz .LBB0_4
; %bb.3:                                ;   in Loop: Header=BB0_2 Depth=1
	v_cvt_f32_u32_e32 v3, s28
	v_cvt_f32_u32_e32 v4, s29
	s_sub_u32 s0, 0, s28
	s_subb_u32 s1, 0, s29
	v_mac_f32_e32 v3, 0x4f800000, v4
	v_rcp_f32_e32 v3, v3
	v_mul_f32_e32 v3, 0x5f7ffffc, v3
	v_mul_f32_e32 v4, 0x2f800000, v3
	v_trunc_f32_e32 v4, v4
	v_mac_f32_e32 v3, 0xcf800000, v4
	v_cvt_u32_f32_e32 v4, v4
	v_cvt_u32_f32_e32 v3, v3
	v_mul_lo_u32 v6, s0, v4
	v_mul_hi_u32 v9, s0, v3
	v_mul_lo_u32 v11, s1, v3
	v_mul_lo_u32 v10, s0, v3
	v_add_u32_e32 v6, v9, v6
	v_add_u32_e32 v6, v6, v11
	v_mul_hi_u32 v9, v3, v10
	v_mul_lo_u32 v11, v3, v6
	v_mul_hi_u32 v13, v3, v6
	v_mul_hi_u32 v12, v4, v10
	v_mul_lo_u32 v10, v4, v10
	v_mul_hi_u32 v14, v4, v6
	v_add_co_u32_e32 v9, vcc, v9, v11
	v_addc_co_u32_e32 v11, vcc, 0, v13, vcc
	v_mul_lo_u32 v6, v4, v6
	v_add_co_u32_e32 v9, vcc, v9, v10
	v_addc_co_u32_e32 v9, vcc, v11, v12, vcc
	v_addc_co_u32_e32 v10, vcc, 0, v14, vcc
	v_add_co_u32_e32 v6, vcc, v9, v6
	v_addc_co_u32_e32 v9, vcc, 0, v10, vcc
	v_add_co_u32_e32 v3, vcc, v3, v6
	v_addc_co_u32_e32 v4, vcc, v4, v9, vcc
	v_mul_lo_u32 v6, s0, v4
	v_mul_hi_u32 v9, s0, v3
	v_mul_lo_u32 v10, s1, v3
	v_mul_lo_u32 v11, s0, v3
	v_add_u32_e32 v6, v9, v6
	v_add_u32_e32 v6, v6, v10
	v_mul_lo_u32 v12, v3, v6
	v_mul_hi_u32 v13, v3, v11
	v_mul_hi_u32 v14, v3, v6
	;; [unrolled: 1-line block ×3, first 2 shown]
	v_mul_lo_u32 v11, v4, v11
	v_mul_hi_u32 v9, v4, v6
	v_add_co_u32_e32 v12, vcc, v13, v12
	v_addc_co_u32_e32 v13, vcc, 0, v14, vcc
	v_mul_lo_u32 v6, v4, v6
	v_add_co_u32_e32 v11, vcc, v12, v11
	v_addc_co_u32_e32 v10, vcc, v13, v10, vcc
	v_addc_co_u32_e32 v9, vcc, 0, v9, vcc
	v_add_co_u32_e32 v6, vcc, v10, v6
	v_addc_co_u32_e32 v9, vcc, 0, v9, vcc
	v_add_co_u32_e32 v6, vcc, v3, v6
	v_addc_co_u32_e32 v9, vcc, v4, v9, vcc
	v_mad_u64_u32 v[3:4], s[0:1], v7, v9, 0
	v_mul_hi_u32 v10, v7, v6
	v_add_co_u32_e32 v11, vcc, v10, v3
	v_addc_co_u32_e32 v12, vcc, 0, v4, vcc
	v_mad_u64_u32 v[3:4], s[0:1], v8, v6, 0
	v_mad_u64_u32 v[9:10], s[0:1], v8, v9, 0
	v_add_co_u32_e32 v3, vcc, v11, v3
	v_addc_co_u32_e32 v3, vcc, v12, v4, vcc
	v_addc_co_u32_e32 v4, vcc, 0, v10, vcc
	v_add_co_u32_e32 v6, vcc, v3, v9
	v_addc_co_u32_e32 v9, vcc, 0, v4, vcc
	v_mul_lo_u32 v10, s29, v6
	v_mul_lo_u32 v11, s28, v9
	v_mad_u64_u32 v[3:4], s[0:1], s28, v6, 0
	v_add3_u32 v4, v4, v11, v10
	v_sub_u32_e32 v10, v8, v4
	v_mov_b32_e32 v11, s29
	v_sub_co_u32_e32 v3, vcc, v7, v3
	v_subb_co_u32_e64 v10, s[0:1], v10, v11, vcc
	v_subrev_co_u32_e64 v11, s[0:1], s28, v3
	v_subbrev_co_u32_e64 v10, s[0:1], 0, v10, s[0:1]
	v_cmp_le_u32_e64 s[0:1], s29, v10
	v_cndmask_b32_e64 v12, 0, -1, s[0:1]
	v_cmp_le_u32_e64 s[0:1], s28, v11
	v_cndmask_b32_e64 v11, 0, -1, s[0:1]
	v_cmp_eq_u32_e64 s[0:1], s29, v10
	v_cndmask_b32_e64 v10, v12, v11, s[0:1]
	v_add_co_u32_e64 v11, s[0:1], 2, v6
	v_addc_co_u32_e64 v12, s[0:1], 0, v9, s[0:1]
	v_add_co_u32_e64 v13, s[0:1], 1, v6
	v_addc_co_u32_e64 v14, s[0:1], 0, v9, s[0:1]
	v_subb_co_u32_e32 v4, vcc, v8, v4, vcc
	v_cmp_ne_u32_e64 s[0:1], 0, v10
	v_cmp_le_u32_e32 vcc, s29, v4
	v_cndmask_b32_e64 v10, v14, v12, s[0:1]
	v_cndmask_b32_e64 v12, 0, -1, vcc
	v_cmp_le_u32_e32 vcc, s28, v3
	v_cndmask_b32_e64 v3, 0, -1, vcc
	v_cmp_eq_u32_e32 vcc, s29, v4
	v_cndmask_b32_e32 v3, v12, v3, vcc
	v_cmp_ne_u32_e32 vcc, 0, v3
	v_cndmask_b32_e64 v3, v13, v11, s[0:1]
	v_cndmask_b32_e32 v4, v9, v10, vcc
	v_cndmask_b32_e32 v3, v6, v3, vcc
.LBB0_4:                                ;   in Loop: Header=BB0_2 Depth=1
	s_andn2_saveexec_b64 s[0:1], s[30:31]
	s_cbranch_execz .LBB0_6
; %bb.5:                                ;   in Loop: Header=BB0_2 Depth=1
	v_cvt_f32_u32_e32 v3, s28
	s_sub_i32 s30, 0, s28
	v_rcp_iflag_f32_e32 v3, v3
	v_mul_f32_e32 v3, 0x4f7ffffe, v3
	v_cvt_u32_f32_e32 v3, v3
	v_mul_lo_u32 v4, s30, v3
	v_mul_hi_u32 v4, v3, v4
	v_add_u32_e32 v3, v3, v4
	v_mul_hi_u32 v3, v7, v3
	v_mul_lo_u32 v4, v3, s28
	v_add_u32_e32 v6, 1, v3
	v_sub_u32_e32 v4, v7, v4
	v_subrev_u32_e32 v9, s28, v4
	v_cmp_le_u32_e32 vcc, s28, v4
	v_cndmask_b32_e32 v4, v4, v9, vcc
	v_cndmask_b32_e32 v3, v3, v6, vcc
	v_add_u32_e32 v6, 1, v3
	v_cmp_le_u32_e32 vcc, s28, v4
	v_cndmask_b32_e32 v3, v3, v6, vcc
	v_mov_b32_e32 v4, v5
.LBB0_6:                                ;   in Loop: Header=BB0_2 Depth=1
	s_or_b64 exec, exec, s[0:1]
	v_mul_lo_u32 v6, v4, s28
	v_mul_lo_u32 v11, v3, s29
	v_mad_u64_u32 v[9:10], s[0:1], v3, s28, 0
	s_load_dwordx2 s[0:1], s[22:23], 0x0
	s_load_dwordx2 s[28:29], s[6:7], 0x0
	v_add3_u32 v6, v10, v11, v6
	v_sub_co_u32_e32 v7, vcc, v7, v9
	v_subb_co_u32_e32 v6, vcc, v8, v6, vcc
	s_waitcnt lgkmcnt(0)
	v_mul_lo_u32 v8, s0, v6
	v_mul_lo_u32 v9, s1, v7
	v_mad_u64_u32 v[41:42], s[0:1], s0, v7, v[41:42]
	v_mul_lo_u32 v6, s28, v6
	v_mul_lo_u32 v10, s29, v7
	v_mad_u64_u32 v[1:2], s[0:1], s28, v7, v[1:2]
	s_add_u32 s26, s26, 1
	s_addc_u32 s27, s27, 0
	s_add_u32 s6, s6, 8
	v_add3_u32 v2, v10, v2, v6
	s_addc_u32 s7, s7, 0
	v_mov_b32_e32 v6, s14
	s_add_u32 s22, s22, 8
	v_mov_b32_e32 v7, s15
	s_addc_u32 s23, s23, 0
	v_cmp_ge_u64_e32 vcc, s[26:27], v[6:7]
	s_add_u32 s24, s24, 8
	v_add3_u32 v42, v9, v42, v8
	s_addc_u32 s25, s25, 0
	s_cbranch_vccnz .LBB0_8
; %bb.7:                                ;   in Loop: Header=BB0_2 Depth=1
	v_mov_b32_e32 v8, v4
	v_mov_b32_e32 v7, v3
	s_branch .LBB0_2
.LBB0_8:
	s_lshl_b64 s[22:23], s[14:15], 3
	s_load_dwordx2 s[0:1], s[4:5], 0x28
	s_add_u32 s4, s18, s22
	s_mov_b32 s5, 0x7878788
	v_mul_hi_u32 v5, v0, s5
	s_addc_u32 s5, s19, s23
	s_load_dwordx2 s[4:5], s[4:5], 0x0
	s_waitcnt lgkmcnt(0)
	v_cmp_gt_u64_e32 vcc, s[0:1], v[3:4]
	v_mul_u32_u24_e32 v5, 34, v5
	v_sub_u32_e32 v0, v0, v5
	v_mov_b32_e32 v30, 0
	v_mov_b32_e32 v47, 0
	;; [unrolled: 1-line block ×3, first 2 shown]
                                        ; implicit-def: $vgpr36
                                        ; implicit-def: $vgpr32
                                        ; implicit-def: $vgpr26
                                        ; implicit-def: $vgpr24
                                        ; implicit-def: $vgpr18
                                        ; implicit-def: $vgpr14
                                        ; implicit-def: $vgpr10
                                        ; implicit-def: $vgpr6
                                        ; implicit-def: $vgpr38
                                        ; implicit-def: $vgpr34
                                        ; implicit-def: $vgpr28
                                        ; implicit-def: $vgpr22
                                        ; implicit-def: $vgpr20
                                        ; implicit-def: $vgpr16
                                        ; implicit-def: $vgpr12
                                        ; implicit-def: $vgpr8
	s_and_saveexec_b64 s[6:7], vcc
	s_cbranch_execz .LBB0_12
; %bb.9:
	v_cmp_gt_u32_e64 s[0:1], 20, v0
	v_mov_b32_e32 v29, 0
	v_mov_b32_e32 v30, 0
                                        ; implicit-def: $vgpr7
                                        ; implicit-def: $vgpr11
                                        ; implicit-def: $vgpr15
                                        ; implicit-def: $vgpr19
                                        ; implicit-def: $vgpr21
                                        ; implicit-def: $vgpr27
                                        ; implicit-def: $vgpr33
                                        ; implicit-def: $vgpr37
                                        ; implicit-def: $vgpr5
                                        ; implicit-def: $vgpr9
                                        ; implicit-def: $vgpr13
                                        ; implicit-def: $vgpr17
                                        ; implicit-def: $vgpr23
                                        ; implicit-def: $vgpr25
                                        ; implicit-def: $vgpr31
                                        ; implicit-def: $vgpr35
	s_and_saveexec_b64 s[14:15], s[0:1]
	s_cbranch_execz .LBB0_11
; %bb.10:
	s_add_u32 s0, s16, s22
	s_addc_u32 s1, s17, s23
	s_load_dwordx2 s[0:1], s[0:1], 0x0
	v_mad_u64_u32 v[5:6], s[16:17], s20, v0, 0
	v_add_u32_e32 v13, 20, v0
	s_waitcnt lgkmcnt(0)
	v_mul_lo_u32 v11, s1, v3
	v_mul_lo_u32 v12, s0, v4
	v_mad_u64_u32 v[7:8], s[0:1], s0, v3, 0
	v_mad_u64_u32 v[9:10], s[0:1], s21, v0, v[6:7]
	v_add3_u32 v8, v8, v12, v11
	v_lshlrev_b64 v[7:8], 3, v[7:8]
	v_mov_b32_e32 v6, v9
	v_mov_b32_e32 v9, s9
	v_add_co_u32_e64 v11, s[0:1], s8, v7
	v_addc_co_u32_e64 v12, s[0:1], v9, v8, s[0:1]
	v_mad_u64_u32 v[9:10], s[0:1], s20, v13, 0
	v_lshlrev_b64 v[7:8], 3, v[41:42]
	v_lshlrev_b64 v[5:6], 3, v[5:6]
	v_add_co_u32_e64 v14, s[0:1], v11, v7
	v_mov_b32_e32 v7, v10
	v_addc_co_u32_e64 v15, s[0:1], v12, v8, s[0:1]
	v_mad_u64_u32 v[7:8], s[0:1], s21, v13, v[7:8]
	v_add_u32_e32 v8, 40, v0
	v_mad_u64_u32 v[11:12], s[0:1], s20, v8, 0
	v_add_co_u32_e64 v33, s[0:1], v14, v5
	v_mov_b32_e32 v10, v7
	v_mov_b32_e32 v7, v12
	v_addc_co_u32_e64 v34, s[0:1], v15, v6, s[0:1]
	v_lshlrev_b64 v[5:6], 3, v[9:10]
	v_mad_u64_u32 v[7:8], s[0:1], s21, v8, v[7:8]
	v_add_u32_e32 v10, 60, v0
	v_mad_u64_u32 v[8:9], s[0:1], s20, v10, 0
	v_add_co_u32_e64 v37, s[0:1], v14, v5
	v_mov_b32_e32 v12, v7
	v_mov_b32_e32 v7, v9
	v_addc_co_u32_e64 v38, s[0:1], v15, v6, s[0:1]
	v_lshlrev_b64 v[5:6], 3, v[11:12]
	v_mad_u64_u32 v[9:10], s[0:1], s21, v10, v[7:8]
	v_add_u32_e32 v12, 0x50, v0
	v_mad_u64_u32 v[10:11], s[0:1], s20, v12, 0
	v_add_co_u32_e64 v40, s[0:1], v14, v5
	v_mov_b32_e32 v7, v11
	v_addc_co_u32_e64 v41, s[0:1], v15, v6, s[0:1]
	v_lshlrev_b64 v[5:6], 3, v[8:9]
	v_mad_u64_u32 v[7:8], s[0:1], s21, v12, v[7:8]
	v_add_u32_e32 v12, 0x64, v0
	v_mad_u64_u32 v[8:9], s[0:1], s20, v12, 0
	v_add_co_u32_e64 v42, s[0:1], v14, v5
	v_mov_b32_e32 v11, v7
	v_mov_b32_e32 v7, v9
	v_addc_co_u32_e64 v43, s[0:1], v15, v6, s[0:1]
	v_lshlrev_b64 v[5:6], 3, v[10:11]
	v_mad_u64_u32 v[9:10], s[0:1], s21, v12, v[7:8]
	v_add_u32_e32 v12, 0x78, v0
	v_mad_u64_u32 v[10:11], s[0:1], s20, v12, 0
	v_add_co_u32_e64 v44, s[0:1], v14, v5
	v_mov_b32_e32 v7, v11
	v_addc_co_u32_e64 v45, s[0:1], v15, v6, s[0:1]
	v_lshlrev_b64 v[5:6], 3, v[8:9]
	v_mad_u64_u32 v[7:8], s[0:1], s21, v12, v[7:8]
	v_add_u32_e32 v12, 0x8c, v0
	v_mad_u64_u32 v[8:9], s[0:1], s20, v12, 0
	v_add_co_u32_e64 v46, s[0:1], v14, v5
	v_mov_b32_e32 v11, v7
	v_mov_b32_e32 v7, v9
	v_addc_co_u32_e64 v47, s[0:1], v15, v6, s[0:1]
	v_lshlrev_b64 v[5:6], 3, v[10:11]
	v_mad_u64_u32 v[9:10], s[0:1], s21, v12, v[7:8]
	v_or_b32_e32 v12, 0xa0, v0
	v_mad_u64_u32 v[10:11], s[0:1], s20, v12, 0
	v_add_co_u32_e64 v48, s[0:1], v14, v5
	v_mov_b32_e32 v7, v11
	v_addc_co_u32_e64 v49, s[0:1], v15, v6, s[0:1]
	v_lshlrev_b64 v[5:6], 3, v[8:9]
	v_mad_u64_u32 v[7:8], s[0:1], s21, v12, v[7:8]
	v_add_u32_e32 v12, 0xb4, v0
	v_mad_u64_u32 v[8:9], s[0:1], s20, v12, 0
	v_add_co_u32_e64 v50, s[0:1], v14, v5
	v_mov_b32_e32 v11, v7
	v_mov_b32_e32 v7, v9
	v_addc_co_u32_e64 v51, s[0:1], v15, v6, s[0:1]
	v_lshlrev_b64 v[5:6], 3, v[10:11]
	v_mad_u64_u32 v[9:10], s[0:1], s21, v12, v[7:8]
	v_add_u32_e32 v12, 0xc8, v0
	v_mad_u64_u32 v[10:11], s[0:1], s20, v12, 0
	v_add_co_u32_e64 v52, s[0:1], v14, v5
	v_mov_b32_e32 v7, v11
	v_addc_co_u32_e64 v53, s[0:1], v15, v6, s[0:1]
	v_lshlrev_b64 v[5:6], 3, v[8:9]
	v_mad_u64_u32 v[7:8], s[0:1], s21, v12, v[7:8]
	v_add_u32_e32 v12, 0xdc, v0
	v_mad_u64_u32 v[8:9], s[0:1], s20, v12, 0
	v_add_co_u32_e64 v54, s[0:1], v14, v5
	v_mov_b32_e32 v11, v7
	v_mov_b32_e32 v7, v9
	v_addc_co_u32_e64 v55, s[0:1], v15, v6, s[0:1]
	v_lshlrev_b64 v[5:6], 3, v[10:11]
	v_mad_u64_u32 v[9:10], s[0:1], s21, v12, v[7:8]
	v_add_u32_e32 v12, 0xf0, v0
	;; [unrolled: 15-line block ×3, first 2 shown]
	v_mad_u64_u32 v[10:11], s[0:1], s20, v12, 0
	v_add_co_u32_e64 v60, s[0:1], v14, v5
	v_mov_b32_e32 v7, v11
	v_addc_co_u32_e64 v61, s[0:1], v15, v6, s[0:1]
	v_lshlrev_b64 v[5:6], 3, v[8:9]
	v_mad_u64_u32 v[7:8], s[0:1], s21, v12, v[7:8]
	v_add_u32_e32 v12, 0x12c, v0
	v_mad_u64_u32 v[8:9], s[0:1], s20, v12, 0
	v_add_co_u32_e64 v62, s[0:1], v14, v5
	v_mov_b32_e32 v11, v7
	v_mov_b32_e32 v7, v9
	v_addc_co_u32_e64 v63, s[0:1], v15, v6, s[0:1]
	v_lshlrev_b64 v[5:6], 3, v[10:11]
	v_mad_u64_u32 v[9:10], s[0:1], s21, v12, v[7:8]
	v_or_b32_e32 v12, 0x140, v0
	v_mad_u64_u32 v[10:11], s[0:1], s20, v12, 0
	v_add_co_u32_e64 v64, s[0:1], v14, v5
	v_mov_b32_e32 v7, v11
	v_addc_co_u32_e64 v65, s[0:1], v15, v6, s[0:1]
	v_lshlrev_b64 v[5:6], 3, v[8:9]
	v_mad_u64_u32 v[7:8], s[0:1], s21, v12, v[7:8]
	v_add_co_u32_e64 v66, s[0:1], v14, v5
	v_mov_b32_e32 v11, v7
	v_addc_co_u32_e64 v67, s[0:1], v15, v6, s[0:1]
	v_lshlrev_b64 v[5:6], 3, v[10:11]
	v_add_co_u32_e64 v68, s[0:1], v14, v5
	v_addc_co_u32_e64 v69, s[0:1], v15, v6, s[0:1]
	global_load_dwordx2 v[29:30], v[33:34], off
	global_load_dwordx2 v[35:36], v[37:38], off
	;; [unrolled: 1-line block ×15, first 2 shown]
                                        ; kill: killed $vgpr56 killed $vgpr57
                                        ; kill: killed $vgpr46 killed $vgpr47
                                        ; kill: killed $vgpr33 killed $vgpr34
                                        ; kill: killed $vgpr60 killed $vgpr61
                                        ; kill: killed $vgpr50 killed $vgpr51
                                        ; kill: killed $vgpr40 killed $vgpr41
                                        ; kill: killed $vgpr64 killed $vgpr65
                                        ; kill: killed $vgpr54 killed $vgpr55
                                        ; kill: killed $vgpr44 killed $vgpr45
                                        ; kill: killed $vgpr58 killed $vgpr59
                                        ; kill: killed $vgpr48 killed $vgpr49
                                        ; kill: killed $vgpr37 killed $vgpr38
                                        ; kill: killed $vgpr62 killed $vgpr63
                                        ; kill: killed $vgpr52 killed $vgpr53
                                        ; kill: killed $vgpr42 killed $vgpr43
	global_load_dwordx2 v[33:34], v[66:67], off
	global_load_dwordx2 v[37:38], v[68:69], off
.LBB0_11:
	s_or_b64 exec, exec, s[14:15]
	v_mov_b32_e32 v47, v0
.LBB0_12:
	s_or_b64 exec, exec, s[6:7]
	s_mov_b32 s0, 0xaaaaaaab
	v_mul_hi_u32 v40, v39, s0
	v_cmp_gt_u32_e64 s[0:1], 20, v0
	v_lshrrev_b32_e32 v40, 1, v40
	v_lshl_add_u32 v40, v40, 1, v40
	v_sub_u32_e32 v39, v39, v40
	v_mul_u32_u24_e32 v39, 0x154, v39
	v_lshlrev_b32_e32 v48, 2, v39
	s_and_saveexec_b64 s[6:7], s[0:1]
	s_cbranch_execz .LBB0_14
; %bb.13:
	s_waitcnt vmcnt(0)
	v_sub_f32_e32 v63, v36, v38
	v_mul_f32_e32 v39, 0xbe3c28d5, v63
	v_sub_f32_e32 v64, v32, v34
	v_add_f32_e32 v55, v35, v37
	v_mov_b32_e32 v40, v39
	v_mul_f32_e32 v41, 0x3eb8f4ab, v64
	v_fmac_f32_e32 v40, 0xbf7ba420, v55
	v_add_f32_e32 v56, v31, v33
	v_mov_b32_e32 v42, v41
	v_sub_f32_e32 v65, v26, v28
	v_add_f32_e32 v40, v29, v40
	v_fmac_f32_e32 v42, 0x3f6eb680, v56
	v_mul_f32_e32 v43, 0xbf06c442, v65
	v_add_f32_e32 v40, v40, v42
	v_add_f32_e32 v57, v25, v27
	v_mov_b32_e32 v42, v43
	v_sub_f32_e32 v66, v24, v22
	v_fmac_f32_e32 v42, 0xbf59a7d5, v57
	v_mul_f32_e32 v44, 0x3f2c7751, v66
	v_add_f32_e32 v40, v40, v42
	v_add_f32_e32 v58, v23, v21
	v_mov_b32_e32 v42, v44
	v_sub_f32_e32 v67, v18, v20
	;; [unrolled: 6-line block ×5, first 2 shown]
	v_fmac_f32_e32 v42, 0xbe8c1d8e, v61
	v_mul_f32_e32 v50, 0x3f7ee86f, v70
	s_mov_b32 s8, 0xbf7ba420
	v_add_f32_e32 v40, v40, v42
	v_add_f32_e32 v62, v5, v7
	v_mov_b32_e32 v42, v50
	s_mov_b32 s14, 0x3f6eb680
	v_fmac_f32_e32 v42, 0x3dbcf732, v62
	v_fma_f32 v39, v55, s8, -v39
	s_mov_b32 s9, 0xbf59a7d5
	v_add_f32_e32 v42, v40, v42
	v_add_f32_e32 v39, v29, v39
	v_fma_f32 v40, v56, s14, -v41
	s_mov_b32 s16, 0x3f3d2fb0
	v_add_f32_e32 v39, v39, v40
	v_fma_f32 v40, v57, s9, -v43
	s_mov_b32 s15, 0xbf1a4643
	;; [unrolled: 3-line block ×5, first 2 shown]
	v_add_f32_e32 v39, v39, v40
	v_fma_f32 v40, v61, s18, -v49
	v_add_f32_e32 v39, v39, v40
	v_fma_f32 v40, v62, s19, -v50
	v_add_f32_e32 v43, v39, v40
	v_mul_f32_e32 v40, 0xbf06c442, v63
	v_mov_b32_e32 v39, v40
	v_mul_f32_e32 v41, 0x3f65296c, v64
	v_fmac_f32_e32 v39, 0xbf59a7d5, v55
	v_mov_b32_e32 v44, v41
	v_add_f32_e32 v39, v29, v39
	v_fmac_f32_e32 v44, 0x3ee437d1, v56
	v_add_f32_e32 v39, v39, v44
	v_mul_f32_e32 v44, 0xbf7ee86f, v65
	v_mov_b32_e32 v45, v44
	v_fmac_f32_e32 v45, 0x3dbcf732, v57
	v_add_f32_e32 v39, v39, v45
	v_mul_f32_e32 v45, 0x3f4c4adb, v66
	v_mov_b32_e32 v46, v45
	;; [unrolled: 4-line block ×3, first 2 shown]
	v_fmac_f32_e32 v49, 0x3f6eb680, v60
	v_add_f32_e32 v39, v39, v49
	v_mul_f32_e32 v49, 0xbe3c28d5, v68
	v_fma_f32 v40, v55, s9, -v40
	v_mov_b32_e32 v50, v49
	v_add_f32_e32 v40, v29, v40
	v_fma_f32 v41, v56, s17, -v41
	v_fmac_f32_e32 v50, 0xbf7ba420, v59
	v_add_f32_e32 v40, v40, v41
	v_fma_f32 v41, v57, s19, -v44
	v_add_f32_e32 v39, v39, v50
	v_mul_f32_e32 v50, 0x3f2c7751, v69
	v_add_f32_e32 v40, v40, v41
	v_fma_f32 v41, v58, s15, -v45
	v_mov_b32_e32 v51, v50
	v_add_f32_e32 v40, v40, v41
	v_fma_f32 v41, v60, s14, -v46
	v_fmac_f32_e32 v51, 0x3f3d2fb0, v61
	v_add_f32_e32 v40, v40, v41
	v_fma_f32 v41, v59, s8, -v49
	v_add_f32_e32 v39, v39, v51
	v_mul_f32_e32 v51, 0xbf763a35, v70
	v_add_f32_e32 v40, v40, v41
	v_fma_f32 v41, v61, s16, -v50
	v_add_f32_e32 v40, v40, v41
	v_fma_f32 v41, v62, s18, -v51
	v_add_f32_e32 v46, v40, v41
	v_mul_f32_e32 v41, 0xbf4c4adb, v63
	v_mov_b32_e32 v40, v41
	v_mul_f32_e32 v44, 0x3f763a35, v64
	v_fmac_f32_e32 v40, 0xbf1a4643, v55
	v_mov_b32_e32 v45, v44
	v_add_f32_e32 v40, v29, v40
	v_fmac_f32_e32 v45, 0xbe8c1d8e, v56
	v_add_f32_e32 v40, v40, v45
	v_mul_f32_e32 v45, 0xbeb8f4ab, v65
	v_mov_b32_e32 v49, v45
	v_fmac_f32_e32 v49, 0x3f6eb680, v57
	v_add_f32_e32 v40, v40, v49
	v_mul_f32_e32 v49, 0xbf06c442, v66
	v_mov_b32_e32 v50, v49
	v_fmac_f32_e32 v50, 0xbf59a7d5, v58
	v_add_f32_e32 v40, v40, v50
	v_mul_f32_e32 v50, 0x3f7ee86f, v67
	v_mov_b32_e32 v52, v51
	v_mov_b32_e32 v51, v50
	v_fmac_f32_e32 v51, 0x3dbcf732, v60
	v_fmac_f32_e32 v52, 0xbe8c1d8e, v62
	v_add_f32_e32 v40, v40, v51
	v_mul_f32_e32 v51, 0xbf2c7751, v68
	v_fma_f32 v41, v55, s15, -v41
	v_add_f32_e32 v39, v39, v52
	v_mov_b32_e32 v52, v51
	v_add_f32_e32 v41, v29, v41
	v_fma_f32 v44, v56, s18, -v44
	v_fmac_f32_e32 v52, 0x3f3d2fb0, v59
	v_add_f32_e32 v41, v41, v44
	v_fma_f32 v44, v57, s14, -v45
	v_add_f32_e32 v40, v40, v52
	v_mul_f32_e32 v52, 0xbe3c28d5, v69
	v_add_f32_e32 v41, v41, v44
	v_fma_f32 v44, v58, s9, -v49
	v_mov_b32_e32 v53, v52
	v_add_f32_e32 v41, v41, v44
	v_fma_f32 v44, v60, s19, -v50
	v_fmac_f32_e32 v53, 0xbf7ba420, v61
	v_add_f32_e32 v41, v41, v44
	v_fma_f32 v44, v59, s16, -v51
	v_add_f32_e32 v40, v40, v53
	v_mul_f32_e32 v53, 0x3f65296c, v70
	v_add_f32_e32 v41, v41, v44
	v_fma_f32 v44, v61, s8, -v52
	v_add_f32_e32 v41, v41, v44
	v_fma_f32 v44, v62, s17, -v53
	v_add_f32_e32 v50, v41, v44
	v_mul_f32_e32 v44, 0xbf763a35, v63
	v_mov_b32_e32 v41, v44
	v_mul_f32_e32 v45, 0x3f06c442, v64
	v_fmac_f32_e32 v41, 0xbe8c1d8e, v55
	v_mov_b32_e32 v49, v45
	v_add_f32_e32 v41, v29, v41
	v_fmac_f32_e32 v49, 0xbf59a7d5, v56
	v_add_f32_e32 v41, v41, v49
	v_mul_f32_e32 v49, 0x3f2c7751, v65
	v_mov_b32_e32 v51, v49
	v_fmac_f32_e32 v51, 0x3f3d2fb0, v57
	v_add_f32_e32 v41, v41, v51
	v_mul_f32_e32 v51, 0xbf65296c, v66
	v_mov_b32_e32 v52, v51
	v_fmac_f32_e32 v52, 0x3ee437d1, v58
	v_add_f32_e32 v41, v41, v52
	v_mul_f32_e32 v52, 0xbe3c28d5, v67
	v_mov_b32_e32 v54, v53
	v_mov_b32_e32 v53, v52
	v_fmac_f32_e32 v53, 0xbf7ba420, v60
	v_fmac_f32_e32 v54, 0x3ee437d1, v62
	v_add_f32_e32 v41, v41, v53
	v_mul_f32_e32 v53, 0x3f7ee86f, v68
	v_fma_f32 v44, v55, s18, -v44
	v_add_f32_e32 v40, v40, v54
	;; [unrolled: 48-line block ×4, first 2 shown]
	v_mov_b32_e32 v74, v73
	v_add_f32_e32 v49, v29, v49
	v_fma_f32 v53, v56, s15, -v53
	v_fmac_f32_e32 v74, 0x3f6eb680, v59
	v_add_f32_e32 v49, v49, v53
	v_fma_f32 v53, v57, s8, -v54
	v_add_f32_e32 v45, v45, v74
	v_mul_f32_e32 v74, 0xbf7ee86f, v69
	v_add_f32_e32 v49, v49, v53
	v_fma_f32 v53, v58, s18, -v71
	v_mov_b32_e32 v75, v74
	v_add_f32_e32 v49, v49, v53
	v_fma_f32 v53, v60, s16, -v72
	v_fmac_f32_e32 v75, 0x3dbcf732, v61
	v_add_f32_e32 v49, v49, v53
	v_fma_f32 v53, v59, s14, -v73
	v_add_f32_e32 v45, v45, v75
	v_mul_f32_e32 v75, 0xbf06c442, v70
	v_add_f32_e32 v49, v49, v53
	v_fma_f32 v53, v61, s19, -v74
	v_add_f32_e32 v49, v49, v53
	v_fma_f32 v53, v62, s9, -v75
	v_mul_f32_e32 v54, 0xbf2c7751, v63
	v_add_f32_e32 v53, v49, v53
	v_mov_b32_e32 v49, v54
	v_mul_f32_e32 v71, 0xbf7ee86f, v64
	v_fmac_f32_e32 v49, 0x3f3d2fb0, v55
	v_mov_b32_e32 v72, v71
	v_add_f32_e32 v49, v29, v49
	v_fmac_f32_e32 v72, 0x3dbcf732, v56
	v_add_f32_e32 v49, v49, v72
	v_mul_f32_e32 v72, 0xbf4c4adb, v65
	v_mov_b32_e32 v73, v72
	v_fmac_f32_e32 v73, 0xbf1a4643, v57
	v_add_f32_e32 v49, v49, v73
	v_mul_f32_e32 v73, 0xbe3c28d5, v66
	v_mov_b32_e32 v74, v73
	;; [unrolled: 4-line block ×3, first 2 shown]
	v_mov_b32_e32 v75, v74
	v_fmac_f32_e32 v75, 0xbf59a7d5, v60
	v_fmac_f32_e32 v76, 0xbf59a7d5, v62
	v_add_f32_e32 v49, v49, v75
	v_mul_f32_e32 v75, 0x3f763a35, v68
	v_fma_f32 v54, v55, s16, -v54
	v_add_f32_e32 v45, v45, v76
	v_mov_b32_e32 v76, v75
	v_add_f32_e32 v54, v29, v54
	v_fma_f32 v71, v56, s19, -v71
	v_fmac_f32_e32 v76, 0xbe8c1d8e, v59
	v_add_f32_e32 v54, v54, v71
	v_fma_f32 v71, v57, s15, -v72
	v_add_f32_e32 v49, v49, v76
	v_mul_f32_e32 v76, 0x3f65296c, v69
	v_add_f32_e32 v54, v54, v71
	v_fma_f32 v71, v58, s8, -v73
	v_mov_b32_e32 v77, v76
	v_add_f32_e32 v54, v54, v71
	v_fma_f32 v71, v60, s9, -v74
	v_fmac_f32_e32 v77, 0x3ee437d1, v61
	v_add_f32_e32 v54, v54, v71
	v_fma_f32 v71, v59, s18, -v75
	v_add_f32_e32 v49, v49, v77
	v_mul_f32_e32 v77, 0x3eb8f4ab, v70
	v_add_f32_e32 v54, v54, v71
	v_fma_f32 v71, v61, s17, -v76
	v_add_f32_e32 v54, v54, v71
	v_fma_f32 v71, v62, s14, -v77
	v_add_f32_e32 v54, v54, v71
	v_mul_f32_e32 v71, 0xbeb8f4ab, v63
	v_mov_b32_e32 v63, v71
	v_fmac_f32_e32 v63, 0x3f6eb680, v55
	v_fma_f32 v55, v55, s14, -v71
	v_add_f32_e32 v63, v29, v63
	v_add_f32_e32 v55, v29, v55
	;; [unrolled: 1-line block ×4, first 2 shown]
	v_mul_f32_e32 v64, 0xbf2c7751, v64
	v_add_f32_e32 v29, v29, v25
	v_mov_b32_e32 v72, v64
	v_add_f32_e32 v29, v29, v23
	v_fmac_f32_e32 v72, 0x3f3d2fb0, v56
	v_mul_f32_e32 v65, 0xbf65296c, v65
	v_add_f32_e32 v29, v29, v17
	v_add_f32_e32 v63, v63, v72
	v_mov_b32_e32 v72, v65
	v_add_f32_e32 v29, v29, v13
	v_fmac_f32_e32 v72, 0x3ee437d1, v57
	v_mul_f32_e32 v66, 0xbf7ee86f, v66
	v_add_f32_e32 v29, v29, v9
	v_add_f32_e32 v63, v63, v72
	v_mov_b32_e32 v72, v66
	v_add_f32_e32 v29, v29, v5
	v_fmac_f32_e32 v72, 0x3dbcf732, v58
	v_mul_f32_e32 v67, 0xbf763a35, v67
	v_fma_f32 v56, v56, s16, -v64
	v_add_f32_e32 v29, v29, v7
	v_add_f32_e32 v63, v63, v72
	v_mov_b32_e32 v72, v67
	v_add_f32_e32 v55, v55, v56
	v_fma_f32 v56, v57, s17, -v65
	v_add_f32_e32 v29, v11, v29
	v_fmac_f32_e32 v72, 0xbe8c1d8e, v60
	v_mul_f32_e32 v68, 0xbf4c4adb, v68
	v_add_f32_e32 v55, v55, v56
	v_fma_f32 v56, v58, s19, -v66
	v_add_f32_e32 v29, v15, v29
	v_add_f32_e32 v63, v63, v72
	v_mov_b32_e32 v72, v68
	v_add_f32_e32 v55, v55, v56
	v_fma_f32 v56, v60, s18, -v67
	v_add_f32_e32 v29, v19, v29
	v_fmac_f32_e32 v72, 0xbf1a4643, v59
	v_mul_f32_e32 v69, 0xbf06c442, v69
	v_add_f32_e32 v55, v55, v56
	v_fma_f32 v56, v59, s15, -v68
	v_add_f32_e32 v29, v21, v29
	v_add_f32_e32 v63, v63, v72
	v_mov_b32_e32 v72, v69
	v_mul_f32_e32 v70, 0xbe3c28d5, v70
	v_add_f32_e32 v55, v55, v56
	v_fma_f32 v56, v61, s9, -v69
	v_add_f32_e32 v29, v27, v29
	v_fmac_f32_e32 v72, 0xbf59a7d5, v61
	v_add_f32_e32 v55, v55, v56
	v_fma_f32 v56, v62, s8, -v70
	v_add_f32_e32 v29, v33, v29
	v_mov_b32_e32 v78, v77
	v_add_f32_e32 v63, v63, v72
	v_mov_b32_e32 v72, v70
	v_add_f32_e32 v55, v55, v56
	v_add_f32_e32 v56, v37, v29
	v_mul_u32_u24_e32 v29, 0x44, v0
	v_fmac_f32_e32 v78, 0x3f6eb680, v62
	v_fmac_f32_e32 v72, 0xbf7ba420, v62
	v_add3_u32 v29, 0, v29, v48
	v_add_f32_e32 v49, v49, v78
	v_add_f32_e32 v63, v63, v72
	ds_write2_b32 v29, v56, v55 offset1:1
	ds_write2_b32 v29, v54, v53 offset0:2 offset1:3
	ds_write2_b32 v29, v52, v51 offset0:4 offset1:5
	;; [unrolled: 1-line block ×7, first 2 shown]
	ds_write_b32 v29, v63 offset:64
.LBB0_14:
	s_or_b64 exec, exec, s[6:7]
	v_lshlrev_b32_e32 v39, 2, v0
	v_add_u32_e32 v53, 0, v39
	v_add_u32_e32 v49, v53, v48
	;; [unrolled: 1-line block ×3, first 2 shown]
	s_waitcnt vmcnt(0) lgkmcnt(0)
	s_barrier
	v_add3_u32 v29, 0, v48, v39
	ds_read2_b32 v[45:46], v49 offset0:170 offset1:204
	ds_read2_b32 v[41:42], v49 offset0:34 offset1:68
	;; [unrolled: 1-line block ×4, first 2 shown]
	ds_read_b32 v51, v29
	ds_read_b32 v52, v49 offset:1224
	s_waitcnt lgkmcnt(0)
	s_barrier
	s_and_saveexec_b64 s[6:7], s[0:1]
	s_cbranch_execz .LBB0_16
; %bb.15:
	v_add_f32_e32 v54, v30, v36
	v_add_f32_e32 v54, v54, v32
	v_add_f32_e32 v54, v54, v26
	v_add_f32_e32 v54, v54, v24
	v_add_f32_e32 v54, v54, v18
	v_add_f32_e32 v54, v54, v14
	v_add_f32_e32 v54, v54, v10
	v_add_f32_e32 v54, v54, v6
	v_add_f32_e32 v54, v54, v8
	v_add_f32_e32 v54, v12, v54
	v_add_f32_e32 v54, v16, v54
	v_add_f32_e32 v54, v20, v54
	v_add_f32_e32 v54, v22, v54
	v_sub_f32_e32 v35, v35, v37
	v_add_f32_e32 v54, v28, v54
	v_mul_f32_e32 v37, 0xbeb8f4ab, v35
	v_mul_f32_e32 v55, 0xbf2c7751, v35
	;; [unrolled: 1-line block ×8, first 2 shown]
	v_add_f32_e32 v54, v34, v54
	v_add_f32_e32 v36, v36, v38
	s_mov_b32 s14, 0x3f6eb680
	s_mov_b32 s8, 0x3f3d2fb0
	;; [unrolled: 1-line block ×8, first 2 shown]
	v_mov_b32_e32 v67, v35
	v_sub_f32_e32 v31, v31, v33
	v_add_f32_e32 v54, v38, v54
	v_fma_f32 v38, v36, s14, -v37
	v_fmac_f32_e32 v37, 0x3f6eb680, v36
	v_fma_f32 v56, v36, s8, -v55
	v_fmac_f32_e32 v55, 0x3f3d2fb0, v36
	;; [unrolled: 2-line block ×7, first 2 shown]
	v_fmac_f32_e32 v67, 0xbf7ba420, v36
	v_fma_f32 v35, v36, s17, -v35
	v_add_f32_e32 v32, v32, v34
	v_mul_f32_e32 v33, 0xbf2c7751, v31
	v_add_f32_e32 v37, v30, v37
	v_add_f32_e32 v38, v30, v38
	;; [unrolled: 1-line block ×16, first 2 shown]
	v_fma_f32 v34, v32, s8, -v33
	v_fmac_f32_e32 v33, 0x3f3d2fb0, v32
	v_mul_f32_e32 v35, 0xbf7ee86f, v31
	v_add_f32_e32 v33, v37, v33
	v_fma_f32 v36, v32, s0, -v35
	v_fmac_f32_e32 v35, 0x3dbcf732, v32
	v_mul_f32_e32 v37, 0xbf4c4adb, v31
	v_add_f32_e32 v34, v38, v34
	v_add_f32_e32 v35, v55, v35
	v_fma_f32 v38, v32, s15, -v37
	v_fmac_f32_e32 v37, 0xbf1a4643, v32
	v_mul_f32_e32 v55, 0xbe3c28d5, v31
	v_add_f32_e32 v36, v56, v36
	v_add_f32_e32 v37, v57, v37
	v_fma_f32 v56, v32, s17, -v55
	v_fmac_f32_e32 v55, 0xbf7ba420, v32
	v_mul_f32_e32 v57, 0x3f06c442, v31
	v_add_f32_e32 v38, v58, v38
	v_add_f32_e32 v55, v59, v55
	v_fma_f32 v58, v32, s16, -v57
	v_fmac_f32_e32 v57, 0xbf59a7d5, v32
	v_mul_f32_e32 v59, 0x3f763a35, v31
	v_add_f32_e32 v56, v60, v56
	v_add_f32_e32 v57, v61, v57
	v_fma_f32 v60, v32, s9, -v59
	v_fmac_f32_e32 v59, 0xbe8c1d8e, v32
	v_mul_f32_e32 v61, 0x3f65296c, v31
	v_mul_f32_e32 v31, 0x3eb8f4ab, v31
	v_sub_f32_e32 v25, v25, v27
	v_add_f32_e32 v59, v63, v59
	v_mov_b32_e32 v63, v31
	v_fma_f32 v31, v32, s14, -v31
	v_add_f32_e32 v26, v26, v28
	v_mul_f32_e32 v27, 0xbf65296c, v25
	v_add_f32_e32 v30, v30, v31
	v_fma_f32 v28, v26, s1, -v27
	v_fmac_f32_e32 v27, 0x3ee437d1, v26
	v_mul_f32_e32 v31, 0xbf4c4adb, v25
	v_add_f32_e32 v58, v62, v58
	v_fma_f32 v62, v32, s1, -v61
	v_fmac_f32_e32 v61, 0x3ee437d1, v32
	v_fmac_f32_e32 v63, 0x3f6eb680, v32
	v_add_f32_e32 v27, v33, v27
	v_fma_f32 v32, v26, s15, -v31
	v_fmac_f32_e32 v31, 0xbf1a4643, v26
	v_mul_f32_e32 v33, 0x3e3c28d5, v25
	v_add_f32_e32 v28, v34, v28
	v_add_f32_e32 v31, v35, v31
	v_fma_f32 v34, v26, s17, -v33
	v_fmac_f32_e32 v33, 0xbf7ba420, v26
	v_mul_f32_e32 v35, 0x3f763a35, v25
	v_add_f32_e32 v32, v36, v32
	v_add_f32_e32 v33, v37, v33
	v_fma_f32 v36, v26, s9, -v35
	v_fmac_f32_e32 v35, 0xbe8c1d8e, v26
	v_mul_f32_e32 v37, 0x3f2c7751, v25
	v_add_f32_e32 v34, v38, v34
	v_add_f32_e32 v35, v55, v35
	v_fma_f32 v38, v26, s8, -v37
	v_fmac_f32_e32 v37, 0x3f3d2fb0, v26
	v_mul_f32_e32 v55, 0xbeb8f4ab, v25
	v_add_f32_e32 v36, v56, v36
	v_add_f32_e32 v37, v57, v37
	v_fma_f32 v56, v26, s14, -v55
	v_fmac_f32_e32 v55, 0x3f6eb680, v26
	v_mul_f32_e32 v57, 0xbf7ee86f, v25
	v_mul_f32_e32 v25, 0xbf06c442, v25
	v_sub_f32_e32 v21, v23, v21
	v_add_f32_e32 v55, v59, v55
	v_mov_b32_e32 v59, v25
	v_add_f32_e32 v22, v24, v22
	v_mul_f32_e32 v23, 0xbf7ee86f, v21
	v_add_f32_e32 v38, v58, v38
	v_fma_f32 v58, v26, s0, -v57
	v_fmac_f32_e32 v57, 0x3dbcf732, v26
	v_fmac_f32_e32 v59, 0xbf59a7d5, v26
	v_fma_f32 v25, v26, s16, -v25
	v_fma_f32 v24, v22, s0, -v23
	v_fmac_f32_e32 v23, 0x3dbcf732, v22
	v_mul_f32_e32 v26, 0xbe3c28d5, v21
	v_add_f32_e32 v23, v27, v23
	v_add_f32_e32 v24, v28, v24
	v_fma_f32 v27, v22, s17, -v26
	v_fmac_f32_e32 v26, 0xbf7ba420, v22
	v_mul_f32_e32 v28, 0x3f763a35, v21
	v_add_f32_e32 v25, v30, v25
	v_add_f32_e32 v26, v31, v26
	v_fma_f32 v30, v22, s9, -v28
	v_fmac_f32_e32 v28, 0xbe8c1d8e, v22
	v_mul_f32_e32 v31, 0x3eb8f4ab, v21
	v_add_f32_e32 v27, v32, v27
	v_add_f32_e32 v28, v33, v28
	v_fma_f32 v32, v22, s14, -v31
	v_fmac_f32_e32 v31, 0x3f6eb680, v22
	v_mul_f32_e32 v33, 0xbf65296c, v21
	v_add_f32_e32 v30, v34, v30
	v_add_f32_e32 v31, v35, v31
	v_fma_f32 v34, v22, s1, -v33
	v_fmac_f32_e32 v33, 0x3ee437d1, v22
	v_mul_f32_e32 v35, 0xbf06c442, v21
	v_add_f32_e32 v32, v36, v32
	v_add_f32_e32 v33, v37, v33
	v_fma_f32 v36, v22, s16, -v35
	v_fmac_f32_e32 v35, 0xbf59a7d5, v22
	v_mul_f32_e32 v37, 0x3f4c4adb, v21
	v_mul_f32_e32 v21, 0x3f2c7751, v21
	v_sub_f32_e32 v17, v17, v19
	v_add_f32_e32 v35, v55, v35
	v_mov_b32_e32 v55, v21
	v_add_f32_e32 v18, v18, v20
	v_mul_f32_e32 v19, 0xbf763a35, v17
	v_add_f32_e32 v34, v38, v34
	v_fma_f32 v38, v22, s15, -v37
	v_fmac_f32_e32 v37, 0xbf1a4643, v22
	v_fmac_f32_e32 v55, 0x3f3d2fb0, v22
	v_fma_f32 v21, v22, s8, -v21
	v_fma_f32 v20, v18, s9, -v19
	v_fmac_f32_e32 v19, 0xbe8c1d8e, v18
	v_mul_f32_e32 v22, 0x3f06c442, v17
	v_add_f32_e32 v19, v23, v19
	;; [unrolled: 39-line block ×5, first 2 shown]
	v_add_f32_e32 v8, v12, v8
	v_fma_f32 v11, v6, s14, -v10
	v_fmac_f32_e32 v10, 0x3f6eb680, v6
	v_mul_f32_e32 v12, 0xbf06c442, v5
	v_add_f32_e32 v9, v13, v9
	v_add_f32_e32 v10, v14, v10
	v_fma_f32 v13, v6, s16, -v12
	v_fmac_f32_e32 v12, 0xbf59a7d5, v6
	v_mul_f32_e32 v14, 0x3f2c7751, v5
	v_add_f32_e32 v60, v64, v60
	v_add_f32_e32 v61, v65, v61
	v_add_f32_e32 v62, v66, v62
	v_add_f32_e32 v63, v67, v63
	v_add_f32_e32 v11, v15, v11
	v_add_f32_e32 v12, v16, v12
	v_fma_f32 v15, v6, s8, -v14
	v_fmac_f32_e32 v14, 0x3f3d2fb0, v6
	v_mul_f32_e32 v16, 0xbf4c4adb, v5
	v_add_f32_e32 v56, v60, v56
	v_add_f32_e32 v57, v61, v57
	v_add_f32_e32 v58, v62, v58
	v_add_f32_e32 v59, v63, v59
	;; [unrolled: 9-line block ×3, first 2 shown]
	v_add_f32_e32 v15, v19, v15
	v_add_f32_e32 v16, v20, v16
	v_fma_f32 v19, v6, s1, -v18
	v_fmac_f32_e32 v18, 0x3ee437d1, v6
	v_mul_f32_e32 v20, 0xbf763a35, v5
	v_mul_f32_e32 v5, 0x3f7ee86f, v5
	v_add_f32_e32 v32, v36, v32
	v_add_f32_e32 v33, v37, v33
	;; [unrolled: 1-line block ×5, first 2 shown]
	v_mov_b32_e32 v22, v5
	v_add_f32_e32 v27, v32, v27
	v_add_f32_e32 v28, v33, v28
	;; [unrolled: 1-line block ×5, first 2 shown]
	v_fma_f32 v21, v6, s9, -v20
	v_fmac_f32_e32 v20, 0xbe8c1d8e, v6
	v_fmac_f32_e32 v22, 0x3dbcf732, v6
	v_fma_f32 v5, v6, s0, -v5
	v_lshlrev_b32_e32 v6, 6, v0
	v_add_f32_e32 v23, v27, v23
	v_add_f32_e32 v24, v28, v24
	;; [unrolled: 1-line block ×4, first 2 shown]
	v_add3_u32 v6, v53, v6, v48
	v_add_f32_e32 v19, v23, v19
	v_add_f32_e32 v20, v24, v20
	;; [unrolled: 1-line block ×5, first 2 shown]
	ds_write2_b32 v6, v54, v7 offset1:1
	ds_write2_b32 v6, v10, v12 offset0:2 offset1:3
	ds_write2_b32 v6, v14, v16 offset0:4 offset1:5
	ds_write2_b32 v6, v18, v20 offset0:6 offset1:7
	ds_write2_b32 v6, v22, v5 offset0:8 offset1:9
	ds_write2_b32 v6, v21, v19 offset0:10 offset1:11
	ds_write2_b32 v6, v17, v15 offset0:12 offset1:13
	ds_write2_b32 v6, v13, v11 offset0:14 offset1:15
	ds_write_b32 v6, v8 offset:64
.LBB0_16:
	s_or_b64 exec, exec, s[6:7]
	v_subrev_u32_e32 v5, 17, v0
	v_cmp_gt_u32_e64 s[0:1], 17, v0
	v_cndmask_b32_e64 v5, v5, v0, s[0:1]
	v_mov_b32_e32 v6, 0
	v_lshlrev_b64 v[6:7], 3, v[5:6]
	v_mov_b32_e32 v8, s13
	v_add_co_u32_e64 v6, s[0:1], s12, v6
	v_addc_co_u32_e64 v7, s[0:1], v8, v7, s[0:1]
	v_add_u16_e32 v8, 34, v0
	s_movk_i32 s0, 0xf1
	v_mul_lo_u16_sdwa v9, v8, s0 dst_sel:DWORD dst_unused:UNUSED_PAD src0_sel:BYTE_0 src1_sel:DWORD
	v_lshrrev_b16_e32 v24, 12, v9
	v_mul_lo_u16_e32 v9, 17, v24
	v_sub_u16_e32 v25, v8, v9
	v_add_u16_e32 v8, 0x44, v0
	v_mul_lo_u16_sdwa v9, v8, s0 dst_sel:DWORD dst_unused:UNUSED_PAD src0_sel:BYTE_0 src1_sel:DWORD
	v_lshrrev_b16_e32 v26, 12, v9
	v_mul_lo_u16_e32 v9, 17, v26
	v_sub_u16_e32 v27, v8, v9
	v_add_u16_e32 v8, 0x66, v0
	v_mul_lo_u16_sdwa v9, v8, s0 dst_sel:DWORD dst_unused:UNUSED_PAD src0_sel:BYTE_0 src1_sel:DWORD
	v_lshrrev_b16_e32 v28, 12, v9
	v_mul_lo_u16_e32 v9, 17, v28
	v_mov_b32_e32 v16, 3
	v_sub_u16_e32 v30, v8, v9
	s_waitcnt lgkmcnt(0)
	s_barrier
	v_lshlrev_b32_sdwa v17, v16, v25 dst_sel:DWORD dst_unused:UNUSED_PAD src0_sel:DWORD src1_sel:BYTE_0
	v_lshlrev_b32_sdwa v18, v16, v27 dst_sel:DWORD dst_unused:UNUSED_PAD src0_sel:DWORD src1_sel:BYTE_0
	;; [unrolled: 1-line block ×3, first 2 shown]
	global_load_dwordx2 v[8:9], v[6:7], off
	global_load_dwordx2 v[10:11], v17, s[12:13]
	global_load_dwordx2 v[12:13], v18, s[12:13]
	;; [unrolled: 1-line block ×3, first 2 shown]
	v_add_u16_e32 v6, 0x88, v0
	v_mul_lo_u16_sdwa v7, v6, s0 dst_sel:DWORD dst_unused:UNUSED_PAD src0_sel:BYTE_0 src1_sel:DWORD
	v_lshrrev_b16_e32 v31, 12, v7
	v_mul_lo_u16_e32 v7, 17, v31
	v_sub_u16_e32 v32, v6, v7
	v_lshlrev_b32_sdwa v6, v16, v32 dst_sel:DWORD dst_unused:UNUSED_PAD src0_sel:DWORD src1_sel:BYTE_0
	global_load_dwordx2 v[6:7], v6, s[12:13]
	ds_read2_b32 v[16:17], v49 offset0:170 offset1:204
	ds_read2_b32 v[18:19], v49 offset0:34 offset1:68
	ds_read2_b32 v[20:21], v50 offset0:110 offset1:144
	ds_read2_b32 v[22:23], v49 offset0:102 offset1:136
	ds_read_b32 v33, v29
	ds_read_b32 v34, v49 offset:1224
	v_cmp_lt_u32_e64 s[0:1], 16, v0
	v_lshlrev_b32_e32 v5, 2, v5
	s_movk_i32 s6, 0x88
	s_waitcnt vmcnt(0) lgkmcnt(0)
	s_barrier
	v_mul_f32_e32 v35, v16, v9
	v_mul_f32_e32 v9, v45, v9
	v_fma_f32 v35, v45, v8, -v35
	v_fmac_f32_e32 v9, v16, v8
	v_mul_f32_e32 v8, v17, v11
	v_mul_f32_e32 v11, v46, v11
	;; [unrolled: 1-line block ×8, first 2 shown]
	v_fma_f32 v8, v46, v10, -v8
	v_fmac_f32_e32 v11, v17, v10
	v_fma_f32 v10, v43, v12, -v16
	v_fmac_f32_e32 v13, v20, v12
	;; [unrolled: 2-line block ×4, first 2 shown]
	v_sub_f32_e32 v6, v51, v35
	v_mov_b32_e32 v35, 0x88
	v_cndmask_b32_e64 v35, 0, v35, s[0:1]
	v_add_u32_e32 v35, 0, v35
	v_sub_f32_e32 v16, v33, v9
	v_fma_f32 v9, v51, 2.0, -v6
	v_add3_u32 v35, v35, v5, v48
	ds_write2_b32 v35, v9, v6 offset1:17
	v_mov_b32_e32 v6, 2
	v_sub_f32_e32 v8, v41, v8
	v_mad_u32_u24 v5, v24, s6, 0
	v_lshlrev_b32_sdwa v9, v6, v25 dst_sel:DWORD dst_unused:UNUSED_PAD src0_sel:DWORD src1_sel:BYTE_0
	v_fma_f32 v17, v33, 2.0, -v16
	v_sub_f32_e32 v33, v23, v7
	v_fma_f32 v7, v41, 2.0, -v8
	v_add3_u32 v24, v5, v9, v48
	ds_write2_b32 v24, v7, v8 offset1:17
	v_mad_u32_u24 v5, v26, s6, 0
	v_lshlrev_b32_sdwa v7, v6, v27 dst_sel:DWORD dst_unused:UNUSED_PAD src0_sel:DWORD src1_sel:BYTE_0
	v_add3_u32 v25, v5, v7, v48
	v_mad_u32_u24 v5, v28, s6, 0
	v_lshlrev_b32_sdwa v7, v6, v30 dst_sel:DWORD dst_unused:UNUSED_PAD src0_sel:DWORD src1_sel:BYTE_0
	v_sub_f32_e32 v20, v18, v11
	v_sub_f32_e32 v10, v42, v10
	;; [unrolled: 1-line block ×4, first 2 shown]
	v_add3_u32 v26, v5, v7, v48
	v_mad_u32_u24 v5, v31, s6, 0
	v_lshlrev_b32_sdwa v6, v6, v32 dst_sel:DWORD dst_unused:UNUSED_PAD src0_sel:DWORD src1_sel:BYTE_0
	v_sub_f32_e32 v21, v19, v13
	v_fma_f32 v13, v42, 2.0, -v10
	v_fma_f32 v14, v39, 2.0, -v11
	;; [unrolled: 1-line block ×3, first 2 shown]
	v_add3_u32 v27, v5, v6, v48
	ds_write2_b32 v25, v13, v10 offset1:17
	ds_write2_b32 v26, v14, v11 offset1:17
	;; [unrolled: 1-line block ×3, first 2 shown]
	s_waitcnt lgkmcnt(0)
	s_barrier
	ds_read2_b32 v[5:6], v49 offset0:34 offset1:68
	ds_read2_b32 v[9:10], v49 offset0:102 offset1:136
	;; [unrolled: 1-line block ×4, first 2 shown]
	ds_read_b32 v13, v29
	ds_read_b32 v14, v49 offset:1224
	v_sub_f32_e32 v15, v22, v15
	v_fma_f32 v18, v18, 2.0, -v20
	v_fma_f32 v19, v19, 2.0, -v21
	;; [unrolled: 1-line block ×4, first 2 shown]
	s_waitcnt lgkmcnt(0)
	s_barrier
	ds_write2_b32 v35, v17, v16 offset1:17
	ds_write2_b32 v24, v18, v20 offset1:17
	ds_write2_b32 v25, v19, v21 offset1:17
	ds_write2_b32 v26, v22, v15 offset1:17
	ds_write2_b32 v27, v23, v33 offset1:17
	s_waitcnt lgkmcnt(0)
	s_barrier
	s_and_saveexec_b64 s[0:1], vcc
	s_cbranch_execz .LBB0_18
; %bb.17:
	v_mul_u32_u24_e32 v0, 9, v0
	v_lshlrev_b32_e32 v0, 3, v0
	global_load_dwordx4 v[15:18], v0, s[12:13] offset:136
	global_load_dwordx4 v[19:22], v0, s[12:13] offset:152
	;; [unrolled: 1-line block ×4, first 2 shown]
	global_load_dwordx2 v[27:28], v0, s[12:13] offset:200
	v_add_u32_e32 v40, 0x200, v49
	ds_read2_b32 v[34:35], v49 offset0:34 offset1:68
	ds_read2_b32 v[36:37], v49 offset0:102 offset1:136
	;; [unrolled: 1-line block ×3, first 2 shown]
	ds_read_b32 v29, v29
	ds_read_b32 v43, v49 offset:1224
	ds_read2_b32 v[40:41], v40 offset0:110 offset1:144
	v_mul_lo_u32 v0, s5, v3
	v_mul_lo_u32 v42, s4, v4
	v_mad_u64_u32 v[3:4], s[0:1], s4, v3, 0
	s_mov_b32 s5, 0xbf167918
	s_mov_b32 s1, 0x3f167918
	v_add3_u32 v4, v4, v42, v0
	s_mov_b32 s0, 0x3f737871
	v_lshlrev_b64 v[3:4], 3, v[3:4]
	s_mov_b32 s4, 0xbf737871
	s_waitcnt vmcnt(4)
	v_mul_f32_e32 v0, v6, v18
	s_waitcnt vmcnt(3)
	v_mul_f32_e32 v42, v10, v22
	;; [unrolled: 2-line block ×4, first 2 shown]
	s_waitcnt lgkmcnt(4)
	v_mul_f32_e32 v22, v37, v22
	s_waitcnt lgkmcnt(3)
	v_mul_f32_e32 v33, v39, v33
	v_mul_f32_e32 v18, v35, v18
	s_waitcnt lgkmcnt(0)
	v_mul_f32_e32 v26, v41, v26
	v_mul_f32_e32 v46, v36, v20
	;; [unrolled: 1-line block ×3, first 2 shown]
	s_waitcnt vmcnt(0)
	v_mul_f32_e32 v49, v43, v28
	v_mul_f32_e32 v50, v40, v24
	v_fmac_f32_e32 v0, v35, v17
	v_fmac_f32_e32 v42, v37, v21
	;; [unrolled: 1-line block ×4, first 2 shown]
	v_fma_f32 v21, v10, v21, -v22
	v_fma_f32 v22, v12, v32, -v33
	;; [unrolled: 1-line block ×8, first 2 shown]
	v_mul_f32_e32 v20, v9, v20
	v_mul_f32_e32 v28, v14, v28
	;; [unrolled: 1-line block ×4, first 2 shown]
	v_add_f32_e32 v8, v42, v45
	v_sub_f32_e32 v10, v25, v26
	v_sub_f32_e32 v11, v32, v33
	v_mul_f32_e32 v51, v34, v16
	v_fmac_f32_e32 v20, v19, v36
	v_fmac_f32_e32 v28, v27, v43
	;; [unrolled: 1-line block ×4, first 2 shown]
	v_fma_f32 v36, -0.5, v8, v29
	v_add_f32_e32 v11, v10, v11
	v_sub_f32_e32 v8, v42, v0
	v_sub_f32_e32 v10, v45, v44
	v_fma_f32 v35, v5, v15, -v51
	v_add_f32_e32 v12, v26, v33
	v_sub_f32_e32 v19, v20, v31
	v_sub_f32_e32 v23, v28, v24
	v_add_f32_e32 v10, v8, v10
	v_add_f32_e32 v8, v0, v44
	v_sub_f32_e32 v9, v17, v18
	v_fma_f32 v37, -0.5, v12, v35
	v_add_f32_e32 v12, v19, v23
	v_mov_b32_e32 v23, v36
	v_fma_f32 v40, -0.5, v8, v29
	v_sub_f32_e32 v8, v26, v25
	v_sub_f32_e32 v43, v33, v32
	v_mul_f32_e32 v16, v5, v16
	v_sub_f32_e32 v5, v0, v42
	v_sub_f32_e32 v6, v44, v45
	;; [unrolled: 1-line block ×3, first 2 shown]
	v_fmac_f32_e32 v23, 0x3f737871, v9
	v_add_f32_e32 v43, v8, v43
	v_add_f32_e32 v8, v25, v32
	v_fmac_f32_e32 v36, 0xbf737871, v9
	v_fmac_f32_e32 v16, v15, v34
	v_add_f32_e32 v34, v31, v24
	v_add_f32_e32 v5, v5, v6
	v_fmac_f32_e32 v23, 0x3f167918, v7
	v_fma_f32 v46, -0.5, v8, v35
	v_sub_f32_e32 v8, v31, v20
	v_sub_f32_e32 v49, v24, v28
	v_fmac_f32_e32 v36, 0xbf167918, v7
	v_fma_f32 v19, -0.5, v34, v16
	v_fmac_f32_e32 v23, 0x3e9e377a, v5
	v_add_f32_e32 v49, v8, v49
	v_add_f32_e32 v8, v20, v28
	v_fmac_f32_e32 v36, 0x3e9e377a, v5
	v_add_f32_e32 v5, v0, v29
	v_sub_f32_e32 v30, v25, v32
	v_mov_b32_e32 v38, v19
	v_fma_f32 v50, -0.5, v8, v16
	v_add_f32_e32 v5, v42, v5
	v_sub_f32_e32 v27, v26, v33
	v_fmac_f32_e32 v38, 0x3f737871, v30
	v_mov_b32_e32 v51, v50
	v_fmac_f32_e32 v19, 0xbf737871, v30
	v_add_f32_e32 v5, v45, v5
	v_fmac_f32_e32 v38, 0x3f167918, v27
	v_fmac_f32_e32 v51, 0xbf737871, v27
	;; [unrolled: 1-line block ×4, first 2 shown]
	v_add_f32_e32 v27, v44, v5
	v_add_f32_e32 v5, v20, v16
	v_sub_f32_e32 v14, v20, v28
	v_mov_b32_e32 v34, v37
	v_add_f32_e32 v5, v31, v5
	v_sub_f32_e32 v15, v31, v24
	v_fmac_f32_e32 v34, 0xbf737871, v14
	v_mov_b32_e32 v41, v40
	v_fmac_f32_e32 v37, 0x3f737871, v14
	v_add_f32_e32 v5, v24, v5
	v_fmac_f32_e32 v34, 0xbf167918, v15
	v_fmac_f32_e32 v41, 0xbf737871, v7
	;; [unrolled: 1-line block ×4, first 2 shown]
	v_add_f32_e32 v28, v28, v5
	v_sub_f32_e32 v5, v17, v21
	v_sub_f32_e32 v7, v18, v22
	v_fmac_f32_e32 v34, 0x3e9e377a, v11
	v_fmac_f32_e32 v38, 0x3e9e377a, v12
	v_fmac_f32_e32 v41, 0x3f167918, v9
	v_fmac_f32_e32 v40, 0xbf167918, v9
	v_fmac_f32_e32 v37, 0x3e9e377a, v11
	v_add_f32_e32 v11, v5, v7
	v_sub_f32_e32 v7, v21, v17
	v_sub_f32_e32 v9, v22, v18
	v_mul_f32_e32 v6, 0x3f4f1bbd, v38
	v_add_f32_e32 v5, v21, v22
	v_add_f32_e32 v9, v7, v9
	;; [unrolled: 1-line block ×3, first 2 shown]
	v_fma_f32 v39, v34, s5, -v6
	v_mov_b32_e32 v48, v46
	v_fma_f32 v29, -0.5, v5, v13
	v_mul_f32_e32 v5, 0x3f4f1bbd, v34
	v_fma_f32 v34, -0.5, v7, v13
	v_fmac_f32_e32 v48, 0x3f737871, v15
	v_sub_f32_e32 v16, v42, v45
	v_fma_f32 v31, v38, s1, -v5
	v_mov_b32_e32 v38, v34
	v_fmac_f32_e32 v48, 0xbf167918, v14
	v_fmac_f32_e32 v51, 0x3f167918, v30
	;; [unrolled: 1-line block ×3, first 2 shown]
	v_sub_f32_e32 v0, v0, v44
	v_mov_b32_e32 v30, v29
	v_fmac_f32_e32 v38, 0x3f737871, v16
	v_fmac_f32_e32 v34, 0xbf737871, v16
	;; [unrolled: 1-line block ×7, first 2 shown]
	v_add_f32_e32 v0, v13, v17
	v_fmac_f32_e32 v51, 0x3e9e377a, v49
	v_fmac_f32_e32 v19, 0x3e9e377a, v12
	v_mul_f32_e32 v7, 0x3e9e377a, v48
	v_add_f32_e32 v0, v0, v21
	v_sub_f32_e32 v6, v23, v39
	v_fmac_f32_e32 v30, 0xbf167918, v16
	v_fma_f32 v42, v51, s0, -v7
	v_fmac_f32_e32 v29, 0x3f167918, v16
	v_mul_f32_e32 v45, 0x3f167918, v19
	v_add_f32_e32 v0, v0, v22
	v_add_f32_e32 v16, v23, v39
	v_mad_u64_u32 v[23:24], s[0:1], s2, v47, 0
	v_fmac_f32_e32 v46, 0xbf737871, v15
	v_mul_f32_e32 v15, 0xbf167918, v37
	v_fmac_f32_e32 v45, 0x3f4f1bbd, v37
	v_add_f32_e32 v37, v18, v0
	v_add_f32_e32 v0, v25, v35
	;; [unrolled: 1-line block ×5, first 2 shown]
	v_mov_b32_e32 v0, v24
	v_fmac_f32_e32 v46, 0x3f167918, v14
	v_sub_f32_e32 v14, v27, v28
	v_add_f32_e32 v26, v27, v28
	v_mad_u64_u32 v[24:25], s[0:1], s3, v47, v[0:1]
	v_mov_b32_e32 v0, s11
	v_add_co_u32_e32 v27, vcc, s10, v3
	v_add_u32_e32 v28, 34, v47
	v_addc_co_u32_e32 v4, vcc, v0, v4, vcc
	v_lshlrev_b64 v[0:1], 3, v[1:2]
	v_mad_u64_u32 v[2:3], s[0:1], s2, v28, 0
	v_fmac_f32_e32 v29, 0x3e9e377a, v11
	v_add_co_u32_e32 v27, vcc, v27, v0
	v_fmac_f32_e32 v30, 0x3e9e377a, v11
	v_sub_f32_e32 v11, v29, v45
	v_add_f32_e32 v21, v29, v45
	v_addc_co_u32_e32 v29, vcc, v4, v1, vcc
	v_lshlrev_b64 v[0:1], 3, v[23:24]
	v_mad_u64_u32 v[3:4], s[0:1], s3, v28, v[3:4]
	v_add_co_u32_e32 v0, vcc, v27, v0
	v_add_f32_e32 v25, v37, v32
	v_addc_co_u32_e32 v1, vcc, v29, v1, vcc
	v_add_u32_e32 v4, 0x44, v47
	global_store_dwordx2 v[0:1], v[25:26], off
	v_lshlrev_b64 v[0:1], 3, v[2:3]
	v_mad_u64_u32 v[2:3], s[0:1], s2, v4, 0
	v_fmac_f32_e32 v15, 0x3f4f1bbd, v19
	v_add_co_u32_e32 v0, vcc, v27, v0
	v_mad_u64_u32 v[3:4], s[0:1], s3, v4, v[3:4]
	v_add_u32_e32 v4, 0x66, v47
	v_mad_u64_u32 v[23:24], s[0:1], s2, v4, 0
	v_add_f32_e32 v22, v36, v15
	v_addc_co_u32_e32 v1, vcc, v29, v1, vcc
	global_store_dwordx2 v[0:1], v[21:22], off
	v_lshlrev_b64 v[0:1], 3, v[2:3]
	v_mov_b32_e32 v2, v24
	v_mad_u64_u32 v[2:3], s[0:1], s3, v4, v[2:3]
	v_add_u32_e32 v4, 0x88, v47
	v_fmac_f32_e32 v50, 0x3e9e377a, v49
	v_mov_b32_e32 v24, v2
	v_mad_u64_u32 v[2:3], s[0:1], s2, v4, 0
	v_fmac_f32_e32 v46, 0x3e9e377a, v43
	v_mul_f32_e32 v43, 0xbf737871, v46
	v_mul_f32_e32 v44, 0x3f737871, v50
	v_fmac_f32_e32 v40, 0x3e9e377a, v10
	v_fmac_f32_e32 v43, 0x3e9e377a, v50
	;; [unrolled: 1-line block ×4, first 2 shown]
	v_add_co_u32_e32 v0, vcc, v27, v0
	v_mad_u64_u32 v[3:4], s[0:1], s3, v4, v[3:4]
	v_add_f32_e32 v20, v40, v43
	v_add_f32_e32 v19, v34, v44
	v_addc_co_u32_e32 v1, vcc, v29, v1, vcc
	v_add_u32_e32 v4, 0xaa, v47
	global_store_dwordx2 v[0:1], v[19:20], off
	v_lshlrev_b64 v[0:1], 3, v[23:24]
	v_mad_u64_u32 v[19:20], s[0:1], s2, v4, 0
	v_mul_f32_e32 v8, 0x3e9e377a, v51
	v_fmac_f32_e32 v41, 0x3e9e377a, v10
	v_fma_f32 v52, v48, s4, -v8
	v_fmac_f32_e32 v38, 0x3e9e377a, v9
	v_add_co_u32_e32 v0, vcc, v27, v0
	v_add_f32_e32 v18, v41, v52
	v_add_f32_e32 v17, v38, v42
	v_addc_co_u32_e32 v1, vcc, v29, v1, vcc
	global_store_dwordx2 v[0:1], v[17:18], off
	v_lshlrev_b64 v[0:1], 3, v[2:3]
	v_mov_b32_e32 v2, v20
	v_mad_u64_u32 v[2:3], s[0:1], s3, v4, v[2:3]
	v_add_u32_e32 v4, 0xcc, v47
	v_add_co_u32_e32 v0, vcc, v27, v0
	v_mov_b32_e32 v20, v2
	v_mad_u64_u32 v[2:3], s[0:1], s2, v4, 0
	v_sub_f32_e32 v12, v36, v15
	v_add_f32_e32 v15, v30, v31
	v_mad_u64_u32 v[3:4], s[0:1], s3, v4, v[3:4]
	v_addc_co_u32_e32 v1, vcc, v29, v1, vcc
	v_add_u32_e32 v4, 0xee, v47
	global_store_dwordx2 v[0:1], v[15:16], off
	v_lshlrev_b64 v[0:1], 3, v[19:20]
	v_mad_u64_u32 v[15:16], s[0:1], s2, v4, 0
	v_add_co_u32_e32 v0, vcc, v27, v0
	v_sub_f32_e32 v13, v37, v32
	v_addc_co_u32_e32 v1, vcc, v29, v1, vcc
	global_store_dwordx2 v[0:1], v[13:14], off
	v_lshlrev_b64 v[0:1], 3, v[2:3]
	v_mov_b32_e32 v2, v16
	v_mad_u64_u32 v[2:3], s[0:1], s3, v4, v[2:3]
	v_add_u32_e32 v4, 0x110, v47
	v_add_co_u32_e32 v0, vcc, v27, v0
	v_mov_b32_e32 v16, v2
	v_mad_u64_u32 v[2:3], s[0:1], s2, v4, 0
	v_addc_co_u32_e32 v1, vcc, v29, v1, vcc
	v_mad_u64_u32 v[3:4], s[0:1], s3, v4, v[3:4]
	v_add_u32_e32 v4, 0x132, v47
	global_store_dwordx2 v[0:1], v[11:12], off
	v_lshlrev_b64 v[0:1], 3, v[15:16]
	v_mad_u64_u32 v[11:12], s[0:1], s2, v4, 0
	v_add_co_u32_e32 v0, vcc, v27, v0
	v_sub_f32_e32 v10, v40, v43
	v_sub_f32_e32 v9, v34, v44
	v_addc_co_u32_e32 v1, vcc, v29, v1, vcc
	global_store_dwordx2 v[0:1], v[9:10], off
	v_lshlrev_b64 v[0:1], 3, v[2:3]
	v_mov_b32_e32 v2, v12
	v_mad_u64_u32 v[2:3], s[0:1], s3, v4, v[2:3]
	v_add_co_u32_e32 v0, vcc, v27, v0
	v_sub_f32_e32 v8, v41, v52
	v_sub_f32_e32 v7, v38, v42
	v_addc_co_u32_e32 v1, vcc, v29, v1, vcc
	v_mov_b32_e32 v12, v2
	global_store_dwordx2 v[0:1], v[7:8], off
	v_lshlrev_b64 v[0:1], 3, v[11:12]
	v_sub_f32_e32 v5, v30, v31
	v_add_co_u32_e32 v0, vcc, v27, v0
	v_addc_co_u32_e32 v1, vcc, v29, v1, vcc
	global_store_dwordx2 v[0:1], v[5:6], off
.LBB0_18:
	s_endpgm
	.section	.rodata,"a",@progbits
	.p2align	6, 0x0
	.amdhsa_kernel fft_rtc_fwd_len340_factors_17_2_10_wgs_102_tpt_34_halfLds_sp_op_CI_CI_sbrr_dirReg
		.amdhsa_group_segment_fixed_size 0
		.amdhsa_private_segment_fixed_size 0
		.amdhsa_kernarg_size 104
		.amdhsa_user_sgpr_count 6
		.amdhsa_user_sgpr_private_segment_buffer 1
		.amdhsa_user_sgpr_dispatch_ptr 0
		.amdhsa_user_sgpr_queue_ptr 0
		.amdhsa_user_sgpr_kernarg_segment_ptr 1
		.amdhsa_user_sgpr_dispatch_id 0
		.amdhsa_user_sgpr_flat_scratch_init 0
		.amdhsa_user_sgpr_private_segment_size 0
		.amdhsa_uses_dynamic_stack 0
		.amdhsa_system_sgpr_private_segment_wavefront_offset 0
		.amdhsa_system_sgpr_workgroup_id_x 1
		.amdhsa_system_sgpr_workgroup_id_y 0
		.amdhsa_system_sgpr_workgroup_id_z 0
		.amdhsa_system_sgpr_workgroup_info 0
		.amdhsa_system_vgpr_workitem_id 0
		.amdhsa_next_free_vgpr 79
		.amdhsa_next_free_sgpr 32
		.amdhsa_reserve_vcc 1
		.amdhsa_reserve_flat_scratch 0
		.amdhsa_float_round_mode_32 0
		.amdhsa_float_round_mode_16_64 0
		.amdhsa_float_denorm_mode_32 3
		.amdhsa_float_denorm_mode_16_64 3
		.amdhsa_dx10_clamp 1
		.amdhsa_ieee_mode 1
		.amdhsa_fp16_overflow 0
		.amdhsa_exception_fp_ieee_invalid_op 0
		.amdhsa_exception_fp_denorm_src 0
		.amdhsa_exception_fp_ieee_div_zero 0
		.amdhsa_exception_fp_ieee_overflow 0
		.amdhsa_exception_fp_ieee_underflow 0
		.amdhsa_exception_fp_ieee_inexact 0
		.amdhsa_exception_int_div_zero 0
	.end_amdhsa_kernel
	.text
.Lfunc_end0:
	.size	fft_rtc_fwd_len340_factors_17_2_10_wgs_102_tpt_34_halfLds_sp_op_CI_CI_sbrr_dirReg, .Lfunc_end0-fft_rtc_fwd_len340_factors_17_2_10_wgs_102_tpt_34_halfLds_sp_op_CI_CI_sbrr_dirReg
                                        ; -- End function
	.section	.AMDGPU.csdata,"",@progbits
; Kernel info:
; codeLenInByte = 10144
; NumSgprs: 36
; NumVgprs: 79
; ScratchSize: 0
; MemoryBound: 0
; FloatMode: 240
; IeeeMode: 1
; LDSByteSize: 0 bytes/workgroup (compile time only)
; SGPRBlocks: 4
; VGPRBlocks: 19
; NumSGPRsForWavesPerEU: 36
; NumVGPRsForWavesPerEU: 79
; Occupancy: 3
; WaveLimiterHint : 1
; COMPUTE_PGM_RSRC2:SCRATCH_EN: 0
; COMPUTE_PGM_RSRC2:USER_SGPR: 6
; COMPUTE_PGM_RSRC2:TRAP_HANDLER: 0
; COMPUTE_PGM_RSRC2:TGID_X_EN: 1
; COMPUTE_PGM_RSRC2:TGID_Y_EN: 0
; COMPUTE_PGM_RSRC2:TGID_Z_EN: 0
; COMPUTE_PGM_RSRC2:TIDIG_COMP_CNT: 0
	.type	__hip_cuid_487b487d19f052ea,@object ; @__hip_cuid_487b487d19f052ea
	.section	.bss,"aw",@nobits
	.globl	__hip_cuid_487b487d19f052ea
__hip_cuid_487b487d19f052ea:
	.byte	0                               ; 0x0
	.size	__hip_cuid_487b487d19f052ea, 1

	.ident	"AMD clang version 19.0.0git (https://github.com/RadeonOpenCompute/llvm-project roc-6.4.0 25133 c7fe45cf4b819c5991fe208aaa96edf142730f1d)"
	.section	".note.GNU-stack","",@progbits
	.addrsig
	.addrsig_sym __hip_cuid_487b487d19f052ea
	.amdgpu_metadata
---
amdhsa.kernels:
  - .args:
      - .actual_access:  read_only
        .address_space:  global
        .offset:         0
        .size:           8
        .value_kind:     global_buffer
      - .offset:         8
        .size:           8
        .value_kind:     by_value
      - .actual_access:  read_only
        .address_space:  global
        .offset:         16
        .size:           8
        .value_kind:     global_buffer
      - .actual_access:  read_only
        .address_space:  global
        .offset:         24
        .size:           8
        .value_kind:     global_buffer
      - .actual_access:  read_only
        .address_space:  global
        .offset:         32
        .size:           8
        .value_kind:     global_buffer
      - .offset:         40
        .size:           8
        .value_kind:     by_value
      - .actual_access:  read_only
        .address_space:  global
        .offset:         48
        .size:           8
        .value_kind:     global_buffer
      - .actual_access:  read_only
        .address_space:  global
        .offset:         56
        .size:           8
        .value_kind:     global_buffer
      - .offset:         64
        .size:           4
        .value_kind:     by_value
      - .actual_access:  read_only
        .address_space:  global
        .offset:         72
        .size:           8
        .value_kind:     global_buffer
      - .actual_access:  read_only
        .address_space:  global
        .offset:         80
        .size:           8
        .value_kind:     global_buffer
      - .actual_access:  read_only
        .address_space:  global
        .offset:         88
        .size:           8
        .value_kind:     global_buffer
      - .actual_access:  write_only
        .address_space:  global
        .offset:         96
        .size:           8
        .value_kind:     global_buffer
    .group_segment_fixed_size: 0
    .kernarg_segment_align: 8
    .kernarg_segment_size: 104
    .language:       OpenCL C
    .language_version:
      - 2
      - 0
    .max_flat_workgroup_size: 102
    .name:           fft_rtc_fwd_len340_factors_17_2_10_wgs_102_tpt_34_halfLds_sp_op_CI_CI_sbrr_dirReg
    .private_segment_fixed_size: 0
    .sgpr_count:     36
    .sgpr_spill_count: 0
    .symbol:         fft_rtc_fwd_len340_factors_17_2_10_wgs_102_tpt_34_halfLds_sp_op_CI_CI_sbrr_dirReg.kd
    .uniform_work_group_size: 1
    .uses_dynamic_stack: false
    .vgpr_count:     79
    .vgpr_spill_count: 0
    .wavefront_size: 64
amdhsa.target:   amdgcn-amd-amdhsa--gfx906
amdhsa.version:
  - 1
  - 2
...

	.end_amdgpu_metadata
